;; amdgpu-corpus repo=ROCm/rocFFT kind=compiled arch=gfx906 opt=O3
	.text
	.amdgcn_target "amdgcn-amd-amdhsa--gfx906"
	.amdhsa_code_object_version 6
	.protected	fft_rtc_back_len405_factors_5_3_3_3_3_wgs_108_tpt_27_halfLds_sp_ip_CI_unitstride_sbrr_dirReg ; -- Begin function fft_rtc_back_len405_factors_5_3_3_3_3_wgs_108_tpt_27_halfLds_sp_ip_CI_unitstride_sbrr_dirReg
	.globl	fft_rtc_back_len405_factors_5_3_3_3_3_wgs_108_tpt_27_halfLds_sp_ip_CI_unitstride_sbrr_dirReg
	.p2align	8
	.type	fft_rtc_back_len405_factors_5_3_3_3_3_wgs_108_tpt_27_halfLds_sp_ip_CI_unitstride_sbrr_dirReg,@function
fft_rtc_back_len405_factors_5_3_3_3_3_wgs_108_tpt_27_halfLds_sp_ip_CI_unitstride_sbrr_dirReg: ; @fft_rtc_back_len405_factors_5_3_3_3_3_wgs_108_tpt_27_halfLds_sp_ip_CI_unitstride_sbrr_dirReg
; %bb.0:
	s_load_dwordx2 s[2:3], s[4:5], 0x50
	s_load_dwordx4 s[8:11], s[4:5], 0x0
	s_load_dwordx2 s[12:13], s[4:5], 0x18
	v_mul_u32_u24_e32 v1, 0x97c, v0
	v_lshrrev_b32_e32 v34, 16, v1
	v_mov_b32_e32 v3, 0
	s_waitcnt lgkmcnt(0)
	v_cmp_lt_u64_e64 s[0:1], s[10:11], 2
	v_mov_b32_e32 v1, 0
	v_lshl_add_u32 v5, s6, 2, v34
	v_mov_b32_e32 v6, v3
	s_and_b64 vcc, exec, s[0:1]
	v_mov_b32_e32 v2, 0
	s_cbranch_vccnz .LBB0_8
; %bb.1:
	s_load_dwordx2 s[0:1], s[4:5], 0x10
	s_add_u32 s6, s12, 8
	s_addc_u32 s7, s13, 0
	v_mov_b32_e32 v1, 0
	v_mov_b32_e32 v2, 0
	s_waitcnt lgkmcnt(0)
	s_add_u32 s14, s0, 8
	s_addc_u32 s15, s1, 0
	s_mov_b64 s[16:17], 1
.LBB0_2:                                ; =>This Inner Loop Header: Depth=1
	s_load_dwordx2 s[18:19], s[14:15], 0x0
                                        ; implicit-def: $vgpr7_vgpr8
	s_waitcnt lgkmcnt(0)
	v_or_b32_e32 v4, s19, v6
	v_cmp_ne_u64_e32 vcc, 0, v[3:4]
	s_and_saveexec_b64 s[0:1], vcc
	s_xor_b64 s[20:21], exec, s[0:1]
	s_cbranch_execz .LBB0_4
; %bb.3:                                ;   in Loop: Header=BB0_2 Depth=1
	v_cvt_f32_u32_e32 v4, s18
	v_cvt_f32_u32_e32 v7, s19
	s_sub_u32 s0, 0, s18
	s_subb_u32 s1, 0, s19
	v_mac_f32_e32 v4, 0x4f800000, v7
	v_rcp_f32_e32 v4, v4
	v_mul_f32_e32 v4, 0x5f7ffffc, v4
	v_mul_f32_e32 v7, 0x2f800000, v4
	v_trunc_f32_e32 v7, v7
	v_mac_f32_e32 v4, 0xcf800000, v7
	v_cvt_u32_f32_e32 v7, v7
	v_cvt_u32_f32_e32 v4, v4
	v_mul_lo_u32 v8, s0, v7
	v_mul_hi_u32 v9, s0, v4
	v_mul_lo_u32 v11, s1, v4
	v_mul_lo_u32 v10, s0, v4
	v_add_u32_e32 v8, v9, v8
	v_add_u32_e32 v8, v8, v11
	v_mul_hi_u32 v9, v4, v10
	v_mul_lo_u32 v11, v4, v8
	v_mul_hi_u32 v13, v4, v8
	v_mul_hi_u32 v12, v7, v10
	v_mul_lo_u32 v10, v7, v10
	v_mul_hi_u32 v14, v7, v8
	v_add_co_u32_e32 v9, vcc, v9, v11
	v_addc_co_u32_e32 v11, vcc, 0, v13, vcc
	v_mul_lo_u32 v8, v7, v8
	v_add_co_u32_e32 v9, vcc, v9, v10
	v_addc_co_u32_e32 v9, vcc, v11, v12, vcc
	v_addc_co_u32_e32 v10, vcc, 0, v14, vcc
	v_add_co_u32_e32 v8, vcc, v9, v8
	v_addc_co_u32_e32 v9, vcc, 0, v10, vcc
	v_add_co_u32_e32 v4, vcc, v4, v8
	v_addc_co_u32_e32 v7, vcc, v7, v9, vcc
	v_mul_lo_u32 v8, s0, v7
	v_mul_hi_u32 v9, s0, v4
	v_mul_lo_u32 v10, s1, v4
	v_mul_lo_u32 v11, s0, v4
	v_add_u32_e32 v8, v9, v8
	v_add_u32_e32 v8, v8, v10
	v_mul_lo_u32 v12, v4, v8
	v_mul_hi_u32 v13, v4, v11
	v_mul_hi_u32 v14, v4, v8
	;; [unrolled: 1-line block ×3, first 2 shown]
	v_mul_lo_u32 v11, v7, v11
	v_mul_hi_u32 v9, v7, v8
	v_add_co_u32_e32 v12, vcc, v13, v12
	v_addc_co_u32_e32 v13, vcc, 0, v14, vcc
	v_mul_lo_u32 v8, v7, v8
	v_add_co_u32_e32 v11, vcc, v12, v11
	v_addc_co_u32_e32 v10, vcc, v13, v10, vcc
	v_addc_co_u32_e32 v9, vcc, 0, v9, vcc
	v_add_co_u32_e32 v8, vcc, v10, v8
	v_addc_co_u32_e32 v9, vcc, 0, v9, vcc
	v_add_co_u32_e32 v4, vcc, v4, v8
	v_addc_co_u32_e32 v9, vcc, v7, v9, vcc
	v_mad_u64_u32 v[7:8], s[0:1], v5, v9, 0
	v_mul_hi_u32 v10, v5, v4
	v_add_co_u32_e32 v11, vcc, v10, v7
	v_addc_co_u32_e32 v12, vcc, 0, v8, vcc
	v_mad_u64_u32 v[7:8], s[0:1], v6, v4, 0
	v_mad_u64_u32 v[9:10], s[0:1], v6, v9, 0
	v_add_co_u32_e32 v4, vcc, v11, v7
	v_addc_co_u32_e32 v4, vcc, v12, v8, vcc
	v_addc_co_u32_e32 v7, vcc, 0, v10, vcc
	v_add_co_u32_e32 v4, vcc, v4, v9
	v_addc_co_u32_e32 v9, vcc, 0, v7, vcc
	v_mul_lo_u32 v10, s19, v4
	v_mul_lo_u32 v11, s18, v9
	v_mad_u64_u32 v[7:8], s[0:1], s18, v4, 0
	v_add3_u32 v8, v8, v11, v10
	v_sub_u32_e32 v10, v6, v8
	v_mov_b32_e32 v11, s19
	v_sub_co_u32_e32 v7, vcc, v5, v7
	v_subb_co_u32_e64 v10, s[0:1], v10, v11, vcc
	v_subrev_co_u32_e64 v11, s[0:1], s18, v7
	v_subbrev_co_u32_e64 v10, s[0:1], 0, v10, s[0:1]
	v_cmp_le_u32_e64 s[0:1], s19, v10
	v_cndmask_b32_e64 v12, 0, -1, s[0:1]
	v_cmp_le_u32_e64 s[0:1], s18, v11
	v_cndmask_b32_e64 v11, 0, -1, s[0:1]
	v_cmp_eq_u32_e64 s[0:1], s19, v10
	v_cndmask_b32_e64 v10, v12, v11, s[0:1]
	v_add_co_u32_e64 v11, s[0:1], 2, v4
	v_addc_co_u32_e64 v12, s[0:1], 0, v9, s[0:1]
	v_add_co_u32_e64 v13, s[0:1], 1, v4
	v_addc_co_u32_e64 v14, s[0:1], 0, v9, s[0:1]
	v_subb_co_u32_e32 v8, vcc, v6, v8, vcc
	v_cmp_ne_u32_e64 s[0:1], 0, v10
	v_cmp_le_u32_e32 vcc, s19, v8
	v_cndmask_b32_e64 v10, v14, v12, s[0:1]
	v_cndmask_b32_e64 v12, 0, -1, vcc
	v_cmp_le_u32_e32 vcc, s18, v7
	v_cndmask_b32_e64 v7, 0, -1, vcc
	v_cmp_eq_u32_e32 vcc, s19, v8
	v_cndmask_b32_e32 v7, v12, v7, vcc
	v_cmp_ne_u32_e32 vcc, 0, v7
	v_cndmask_b32_e64 v7, v13, v11, s[0:1]
	v_cndmask_b32_e32 v8, v9, v10, vcc
	v_cndmask_b32_e32 v7, v4, v7, vcc
.LBB0_4:                                ;   in Loop: Header=BB0_2 Depth=1
	s_andn2_saveexec_b64 s[0:1], s[20:21]
	s_cbranch_execz .LBB0_6
; %bb.5:                                ;   in Loop: Header=BB0_2 Depth=1
	v_cvt_f32_u32_e32 v4, s18
	s_sub_i32 s20, 0, s18
	v_rcp_iflag_f32_e32 v4, v4
	v_mul_f32_e32 v4, 0x4f7ffffe, v4
	v_cvt_u32_f32_e32 v4, v4
	v_mul_lo_u32 v7, s20, v4
	v_mul_hi_u32 v7, v4, v7
	v_add_u32_e32 v4, v4, v7
	v_mul_hi_u32 v4, v5, v4
	v_mul_lo_u32 v7, v4, s18
	v_add_u32_e32 v8, 1, v4
	v_sub_u32_e32 v7, v5, v7
	v_subrev_u32_e32 v9, s18, v7
	v_cmp_le_u32_e32 vcc, s18, v7
	v_cndmask_b32_e32 v7, v7, v9, vcc
	v_cndmask_b32_e32 v4, v4, v8, vcc
	v_add_u32_e32 v8, 1, v4
	v_cmp_le_u32_e32 vcc, s18, v7
	v_cndmask_b32_e32 v7, v4, v8, vcc
	v_mov_b32_e32 v8, v3
.LBB0_6:                                ;   in Loop: Header=BB0_2 Depth=1
	s_or_b64 exec, exec, s[0:1]
	v_mul_lo_u32 v4, v8, s18
	v_mul_lo_u32 v11, v7, s19
	v_mad_u64_u32 v[9:10], s[0:1], v7, s18, 0
	s_load_dwordx2 s[0:1], s[6:7], 0x0
	s_add_u32 s16, s16, 1
	v_add3_u32 v4, v10, v11, v4
	v_sub_co_u32_e32 v5, vcc, v5, v9
	v_subb_co_u32_e32 v4, vcc, v6, v4, vcc
	s_waitcnt lgkmcnt(0)
	v_mul_lo_u32 v4, s0, v4
	v_mul_lo_u32 v6, s1, v5
	v_mad_u64_u32 v[1:2], s[0:1], s0, v5, v[1:2]
	s_addc_u32 s17, s17, 0
	s_add_u32 s6, s6, 8
	v_add3_u32 v2, v6, v2, v4
	v_mov_b32_e32 v4, s10
	v_mov_b32_e32 v5, s11
	s_addc_u32 s7, s7, 0
	v_cmp_ge_u64_e32 vcc, s[16:17], v[4:5]
	s_add_u32 s14, s14, 8
	s_addc_u32 s15, s15, 0
	s_cbranch_vccnz .LBB0_9
; %bb.7:                                ;   in Loop: Header=BB0_2 Depth=1
	v_mov_b32_e32 v5, v7
	v_mov_b32_e32 v6, v8
	s_branch .LBB0_2
.LBB0_8:
	v_mov_b32_e32 v8, v6
	v_mov_b32_e32 v7, v5
.LBB0_9:
	s_lshl_b64 s[0:1], s[10:11], 3
	s_add_u32 s0, s12, s0
	s_addc_u32 s1, s13, s1
	s_load_dwordx2 s[6:7], s[0:1], 0x0
	s_load_dwordx2 s[10:11], s[4:5], 0x20
                                        ; implicit-def: $vgpr25
                                        ; implicit-def: $vgpr21
                                        ; implicit-def: $vgpr31
                                        ; implicit-def: $vgpr19
                                        ; implicit-def: $vgpr15
                                        ; implicit-def: $vgpr13
                                        ; implicit-def: $vgpr9
                                        ; implicit-def: $vgpr17
                                        ; implicit-def: $vgpr27
                                        ; implicit-def: $vgpr29
                                        ; implicit-def: $vgpr23
                                        ; implicit-def: $vgpr11
                                        ; implicit-def: $vgpr33
	s_waitcnt lgkmcnt(0)
	v_mad_u64_u32 v[1:2], s[0:1], s6, v7, v[1:2]
	v_mul_lo_u32 v3, s6, v8
	v_mul_lo_u32 v4, s7, v7
	s_mov_b32 s0, 0x97b425f
	v_mul_hi_u32 v5, v0, s0
	v_cmp_gt_u64_e32 vcc, s[10:11], v[7:8]
	v_add3_u32 v2, v4, v2, v3
	v_lshlrev_b64 v[2:3], 3, v[1:2]
	v_mul_u32_u24_e32 v4, 27, v5
	v_sub_u32_e32 v0, v0, v4
                                        ; implicit-def: $vgpr5
                                        ; implicit-def: $vgpr7
	s_and_saveexec_b64 s[4:5], vcc
	s_cbranch_execz .LBB0_11
; %bb.10:
	v_mov_b32_e32 v1, 0
	v_mov_b32_e32 v4, s3
	v_add_co_u32_e64 v6, s[0:1], s2, v2
	v_addc_co_u32_e64 v7, s[0:1], v4, v3, s[0:1]
	v_lshlrev_b64 v[4:5], 3, v[0:1]
	v_add_co_u32_e64 v35, s[0:1], v6, v4
	v_addc_co_u32_e64 v36, s[0:1], v7, v5, s[0:1]
	global_load_dwordx2 v[32:33], v[35:36], off
	global_load_dwordx2 v[16:17], v[35:36], off offset:216
	global_load_dwordx2 v[6:7], v[35:36], off offset:864
	;; [unrolled: 1-line block ×14, first 2 shown]
.LBB0_11:
	s_or_b64 exec, exec, s[4:5]
	s_waitcnt vmcnt(8)
	v_sub_f32_e32 v1, v10, v22
	s_waitcnt vmcnt(2)
	v_sub_f32_e32 v35, v26, v28
	v_add_f32_e32 v1, v35, v1
	v_add_f32_e32 v35, v10, v32
	;; [unrolled: 1-line block ×6, first 2 shown]
	v_and_b32_e32 v34, 3, v34
	v_fma_f32 v37, -0.5, v35, v32
	v_mul_u32_u24_e32 v34, 0x195, v34
	v_sub_f32_e32 v38, v11, v27
	v_mov_b32_e32 v39, v37
	v_fmac_f32_e32 v39, 0xbf737871, v38
	v_sub_f32_e32 v40, v23, v29
	v_lshlrev_b32_e32 v35, 2, v34
	v_fmac_f32_e32 v39, 0xbf167918, v40
	v_add_u32_e32 v34, 0, v35
	v_add_f32_e32 v41, v12, v8
	v_fmac_f32_e32 v39, 0x3e9e377a, v1
	v_mad_u32_u24 v50, v0, 20, v34
	v_fma_f32 v41, -0.5, v41, v16
	s_waitcnt vmcnt(1)
	v_sub_f32_e32 v42, v7, v15
	ds_write2_b32 v50, v36, v39 offset1:1
	v_sub_f32_e32 v36, v6, v8
	v_sub_f32_e32 v39, v14, v12
	v_mov_b32_e32 v43, v41
	v_sub_f32_e32 v44, v9, v13
	v_fmac_f32_e32 v37, 0x3f737871, v38
	v_fmac_f32_e32 v41, 0x3f737871, v42
	v_add_f32_e32 v36, v39, v36
	v_add_f32_e32 v39, v6, v16
	v_fmac_f32_e32 v37, 0x3f167918, v40
	v_fmac_f32_e32 v41, 0x3f167918, v44
	v_add_f32_e32 v39, v8, v39
	v_fmac_f32_e32 v43, 0xbf737871, v42
	v_fmac_f32_e32 v37, 0x3e9e377a, v1
	;; [unrolled: 1-line block ×3, first 2 shown]
	v_add_f32_e32 v39, v12, v39
	v_fmac_f32_e32 v43, 0xbf167918, v44
	ds_write2_b32 v50, v37, v41 offset0:4 offset1:139
	v_add_f32_e32 v37, v20, v30
	v_add_f32_e32 v39, v14, v39
	v_fmac_f32_e32 v43, 0x3e9e377a, v36
	v_sub_f32_e32 v1, v18, v30
	s_waitcnt vmcnt(0)
	v_sub_f32_e32 v36, v24, v20
	v_fma_f32 v37, -0.5, v37, v4
	ds_write2_b32 v50, v39, v43 offset0:135 offset1:136
	v_add_f32_e32 v1, v36, v1
	v_add_f32_e32 v36, v18, v4
	v_sub_f32_e32 v39, v19, v25
	v_mov_b32_e32 v41, v37
	v_add_f32_e32 v36, v30, v36
	v_fmac_f32_e32 v41, 0xbf737871, v39
	v_sub_f32_e32 v43, v31, v21
	v_add_f32_e32 v36, v20, v36
	v_fmac_f32_e32 v41, 0xbf167918, v43
	v_add_f32_e32 v36, v24, v36
	v_fmac_f32_e32 v41, 0x3e9e377a, v1
	v_add_u32_e32 v51, 0x438, v50
	ds_write2_b32 v51, v36, v41 offset1:1
	v_add_f32_e32 v36, v26, v10
	v_fmac_f32_e32 v32, -0.5, v36
	v_sub_f32_e32 v36, v22, v10
	v_sub_f32_e32 v54, v22, v28
	v_add_f32_e32 v22, v14, v6
	v_sub_f32_e32 v41, v28, v26
	v_sub_f32_e32 v10, v10, v26
	v_fmac_f32_e32 v16, -0.5, v22
	v_sub_f32_e32 v22, v8, v6
	v_sub_f32_e32 v26, v12, v14
	v_add_f32_e32 v36, v41, v36
	v_mov_b32_e32 v41, v32
	v_add_f32_e32 v22, v26, v22
	v_mov_b32_e32 v26, v16
	v_fmac_f32_e32 v37, 0x3f737871, v39
	v_fmac_f32_e32 v41, 0x3f737871, v40
	v_fmac_f32_e32 v32, 0xbf737871, v40
	v_fmac_f32_e32 v26, 0x3f737871, v44
	v_fmac_f32_e32 v16, 0xbf737871, v44
	v_fmac_f32_e32 v37, 0x3f167918, v43
	v_fmac_f32_e32 v41, 0xbf167918, v38
	v_fmac_f32_e32 v32, 0x3f167918, v38
	v_fmac_f32_e32 v26, 0xbf167918, v42
	v_fmac_f32_e32 v16, 0x3f167918, v42
	v_fmac_f32_e32 v37, 0x3e9e377a, v1
	v_add_f32_e32 v1, v24, v18
	v_fmac_f32_e32 v41, 0x3e9e377a, v36
	v_fmac_f32_e32 v32, 0x3e9e377a, v36
	v_add_f32_e32 v36, v29, v23
	v_fmac_f32_e32 v26, 0x3e9e377a, v22
	v_fmac_f32_e32 v16, 0x3e9e377a, v22
	v_fmac_f32_e32 v4, -0.5, v1
	v_sub_f32_e32 v1, v30, v18
	v_sub_f32_e32 v22, v20, v24
	v_fma_f32 v52, -0.5, v36, v33
	v_add_f32_e32 v36, v27, v11
	v_add_f32_e32 v1, v22, v1
	v_mov_b32_e32 v22, v4
	v_add_f32_e32 v53, v11, v33
	v_fmac_f32_e32 v33, -0.5, v36
	v_fmac_f32_e32 v22, 0x3f737871, v43
	v_fmac_f32_e32 v4, 0xbf737871, v43
	v_mov_b32_e32 v55, v33
	v_fmac_f32_e32 v22, 0xbf167918, v39
	v_fmac_f32_e32 v4, 0x3f167918, v39
	v_sub_f32_e32 v36, v23, v11
	v_sub_f32_e32 v38, v29, v27
	v_fmac_f32_e32 v55, 0xbf737871, v54
	v_fmac_f32_e32 v33, 0x3f737871, v54
	;; [unrolled: 1-line block ×4, first 2 shown]
	ds_write2_b32 v50, v41, v32 offset0:2 offset1:3
	ds_write2_b32 v50, v26, v16 offset0:137 offset1:138
	v_add_u32_e32 v16, 0x440, v50
	v_add_f32_e32 v36, v38, v36
	v_fmac_f32_e32 v55, 0x3f167918, v10
	v_fmac_f32_e32 v33, 0xbf167918, v10
	ds_write2_b32 v16, v22, v4 offset1:1
	ds_write_b32 v50, v37 offset:1096
	v_lshlrev_b32_e32 v4, 2, v0
	v_fmac_f32_e32 v55, 0x3e9e377a, v36
	v_fmac_f32_e32 v33, 0x3e9e377a, v36
	v_add_u32_e32 v1, v34, v4
	v_add3_u32 v22, 0, v4, v35
	s_waitcnt lgkmcnt(0)
	s_barrier
	ds_read_b32 v32, v1
	v_add_u32_e32 v28, 0x200, v22
	v_add_u32_e32 v26, 0x400, v22
	ds_read2_b32 v[36:37], v22 offset0:135 offset1:162
	ds_read2_b32 v[38:39], v28 offset0:115 offset1:142
	;; [unrolled: 1-line block ×7, first 2 shown]
	s_waitcnt lgkmcnt(0)
	s_barrier
	ds_write2_b32 v50, v55, v33 offset0:2 offset1:3
	v_add_f32_e32 v4, v13, v9
	v_add_f32_e32 v55, v15, v7
	v_fma_f32 v4, -0.5, v4, v17
	v_add_f32_e32 v33, v7, v17
	v_fmac_f32_e32 v17, -0.5, v55
	v_sub_f32_e32 v8, v8, v12
	v_mov_b32_e32 v12, v17
	v_sub_f32_e32 v55, v9, v7
	v_sub_f32_e32 v56, v13, v15
	v_fmac_f32_e32 v12, 0xbf737871, v8
	v_sub_f32_e32 v6, v6, v14
	v_fmac_f32_e32 v17, 0x3f737871, v8
	v_add_f32_e32 v55, v56, v55
	v_fmac_f32_e32 v12, 0x3f167918, v6
	v_fmac_f32_e32 v17, 0xbf167918, v6
	;; [unrolled: 1-line block ×4, first 2 shown]
	v_add_f32_e32 v14, v21, v31
	ds_write2_b32 v50, v12, v17 offset0:137 offset1:138
	v_sub_f32_e32 v17, v30, v20
	v_sub_f32_e32 v20, v19, v31
	;; [unrolled: 1-line block ×4, first 2 shown]
	v_fma_f32 v14, -0.5, v14, v5
	v_add_f32_e32 v12, v19, v5
	v_add_f32_e32 v20, v24, v20
	v_mov_b32_e32 v24, v14
	v_add_f32_e32 v12, v31, v12
	v_fmac_f32_e32 v24, 0x3f737871, v18
	v_sub_f32_e32 v7, v7, v9
	v_add_f32_e32 v9, v9, v33
	v_add_f32_e32 v12, v21, v12
	v_fmac_f32_e32 v24, 0x3f167918, v17
	v_add_f32_e32 v9, v13, v9
	v_add_f32_e32 v12, v25, v12
	v_fmac_f32_e32 v24, 0x3e9e377a, v20
	v_sub_f32_e32 v13, v15, v13
	v_add_f32_e32 v9, v15, v9
	v_mov_b32_e32 v15, v52
	ds_write2_b32 v51, v12, v24 offset1:1
	v_sub_f32_e32 v11, v11, v23
	v_add_f32_e32 v12, v23, v53
	v_sub_f32_e32 v23, v27, v29
	v_fmac_f32_e32 v15, 0x3f737871, v10
	v_add_f32_e32 v12, v29, v12
	v_add_f32_e32 v11, v23, v11
	v_fmac_f32_e32 v15, 0x3f167918, v54
	v_add_f32_e32 v12, v27, v12
	v_fmac_f32_e32 v15, 0x3e9e377a, v11
	ds_write2_b32 v50, v12, v15 offset1:1
	v_mov_b32_e32 v12, v4
	v_sub_f32_e32 v30, v31, v19
	v_add_f32_e32 v19, v25, v19
	v_fmac_f32_e32 v12, 0x3f737871, v6
	v_fmac_f32_e32 v4, 0xbf737871, v6
	v_add_f32_e32 v7, v13, v7
	v_fmac_f32_e32 v12, 0x3f167918, v8
	v_fmac_f32_e32 v4, 0xbf167918, v8
	v_fmac_f32_e32 v5, -0.5, v19
	v_fmac_f32_e32 v12, 0x3e9e377a, v7
	v_fmac_f32_e32 v52, 0xbf737871, v10
	;; [unrolled: 1-line block ×3, first 2 shown]
	v_mov_b32_e32 v7, v5
	v_sub_f32_e32 v21, v21, v25
	v_fmac_f32_e32 v52, 0xbf167918, v54
	v_fmac_f32_e32 v14, 0xbf737871, v18
	;; [unrolled: 1-line block ×6, first 2 shown]
	v_add_f32_e32 v6, v21, v30
	v_fmac_f32_e32 v7, 0x3f167918, v18
	v_fmac_f32_e32 v5, 0xbf167918, v18
	s_movk_i32 s0, 0xcd
	ds_write2_b32 v50, v9, v12 offset0:135 offset1:136
	v_fmac_f32_e32 v14, 0x3e9e377a, v20
	v_fmac_f32_e32 v7, 0x3e9e377a, v6
	;; [unrolled: 1-line block ×3, first 2 shown]
	ds_write2_b32 v50, v52, v4 offset0:4 offset1:139
	ds_write2_b32 v16, v7, v5 offset1:1
	ds_write_b32 v50, v14 offset:1096
	v_mul_lo_u16_sdwa v4, v0, s0 dst_sel:DWORD dst_unused:UNUSED_PAD src0_sel:BYTE_0 src1_sel:DWORD
	v_lshrrev_b16_e32 v29, 10, v4
	v_mul_lo_u16_e32 v4, 5, v29
	v_sub_u16_e32 v30, v0, v4
	v_mov_b32_e32 v8, 4
	v_add_u32_e32 v24, 27, v0
	v_lshlrev_b32_sdwa v4, v8, v30 dst_sel:DWORD dst_unused:UNUSED_PAD src0_sel:DWORD src1_sel:BYTE_0
	v_mul_lo_u16_sdwa v9, v24, s0 dst_sel:DWORD dst_unused:UNUSED_PAD src0_sel:BYTE_0 src1_sel:DWORD
	s_waitcnt lgkmcnt(0)
	s_barrier
	global_load_dwordx4 v[4:7], v4, s[8:9]
	v_lshrrev_b16_e32 v31, 10, v9
	v_mul_lo_u16_e32 v9, 5, v31
	v_sub_u16_e32 v33, v24, v9
	v_add_u32_e32 v25, 54, v0
	v_lshlrev_b32_sdwa v9, v8, v33 dst_sel:DWORD dst_unused:UNUSED_PAD src0_sel:DWORD src1_sel:BYTE_0
	global_load_dwordx4 v[9:12], v9, s[8:9]
	v_mul_lo_u16_sdwa v13, v25, s0 dst_sel:DWORD dst_unused:UNUSED_PAD src0_sel:BYTE_0 src1_sel:DWORD
	v_lshrrev_b16_e32 v50, 10, v13
	v_mul_lo_u16_e32 v13, 5, v50
	v_sub_u16_e32 v51, v25, v13
	v_lshlrev_b32_sdwa v13, v8, v51 dst_sel:DWORD dst_unused:UNUSED_PAD src0_sel:DWORD src1_sel:BYTE_0
	global_load_dwordx4 v[13:16], v13, s[8:9]
	ds_read2_b32 v[17:18], v22 offset0:135 offset1:162
	ds_read2_b32 v[19:20], v28 offset0:115 offset1:142
	v_add_u32_e32 v27, 0x51, v0
	v_add_u32_e32 v23, 0x6c, v0
	s_waitcnt vmcnt(2) lgkmcnt(1)
	v_mul_f32_e32 v52, v17, v5
	v_mul_f32_e32 v5, v36, v5
	v_fmac_f32_e32 v52, v36, v4
	v_fma_f32 v36, v17, v4, -v5
	s_waitcnt lgkmcnt(0)
	v_mul_f32_e32 v53, v20, v7
	v_mul_f32_e32 v4, v39, v7
	v_fmac_f32_e32 v53, v39, v6
	v_fma_f32 v39, v20, v6, -v4
	ds_read2_b32 v[20:21], v26 offset0:41 offset1:68
	s_waitcnt vmcnt(1)
	v_mul_f32_e32 v4, v37, v10
	v_mul_f32_e32 v54, v18, v10
	v_fma_f32 v55, v18, v9, -v4
	ds_read2_b32 v[17:18], v22 offset0:189 offset1:216
	s_waitcnt lgkmcnt(1)
	v_mul_f32_e32 v56, v20, v12
	v_mul_f32_e32 v4, v42, v12
	v_fmac_f32_e32 v54, v37, v9
	v_fmac_f32_e32 v56, v42, v11
	v_fma_f32 v42, v20, v11, -v4
	v_mul_lo_u16_sdwa v4, v27, s0 dst_sel:DWORD dst_unused:UNUSED_PAD src0_sel:BYTE_0 src1_sel:DWORD
	s_waitcnt vmcnt(0)
	v_mul_f32_e32 v57, v21, v16
	v_mul_f32_e32 v9, v43, v16
	v_lshrrev_b16_e32 v20, 10, v4
	v_fmac_f32_e32 v57, v43, v15
	v_fma_f32 v15, v21, v15, -v9
	v_mul_f32_e32 v9, v44, v14
	v_mul_lo_u16_e32 v4, 5, v20
	s_waitcnt lgkmcnt(0)
	v_mul_f32_e32 v16, v17, v14
	v_fma_f32 v17, v17, v13, -v9
	v_mul_lo_u16_sdwa v9, v23, s0 dst_sel:DWORD dst_unused:UNUSED_PAD src0_sel:BYTE_0 src1_sel:DWORD
	v_sub_u16_e32 v37, v27, v4
	v_lshrrev_b16_e32 v21, 10, v9
	v_lshlrev_b32_sdwa v4, v8, v37 dst_sel:DWORD dst_unused:UNUSED_PAD src0_sel:DWORD src1_sel:BYTE_0
	v_mul_lo_u16_e32 v9, 5, v21
	global_load_dwordx4 v[4:7], v4, s[8:9]
	v_sub_u16_e32 v43, v23, v9
	v_lshlrev_b32_sdwa v9, v8, v43 dst_sel:DWORD dst_unused:UNUSED_PAD src0_sel:DWORD src1_sel:BYTE_0
	global_load_dwordx4 v[9:12], v9, s[8:9]
	v_fmac_f32_e32 v16, v44, v13
	ds_read2_b32 v[13:14], v26 offset0:95 offset1:122
	v_cmp_gt_u32_e64 s[0:1], 15, v0
	s_waitcnt vmcnt(1)
	v_mul_f32_e32 v44, v18, v5
	v_mul_f32_e32 v5, v45, v5
	v_fmac_f32_e32 v44, v45, v4
	v_fma_f32 v45, v18, v4, -v5
	v_mul_f32_e32 v4, v48, v7
	s_waitcnt lgkmcnt(0)
	v_mul_f32_e32 v58, v13, v7
	v_fma_f32 v13, v13, v6, -v4
	s_waitcnt vmcnt(0)
	v_mul_f32_e32 v4, v38, v10
	v_fmac_f32_e32 v58, v48, v6
	v_mul_f32_e32 v48, v19, v10
	v_fma_f32 v10, v19, v9, -v4
	v_mul_f32_e32 v59, v14, v12
	v_mul_f32_e32 v4, v49, v12
	v_add_f32_e32 v5, v52, v53
	v_fmac_f32_e32 v48, v38, v9
	v_fmac_f32_e32 v59, v49, v11
	v_fma_f32 v11, v14, v11, -v4
	v_add_f32_e32 v4, v32, v52
	v_fmac_f32_e32 v32, -0.5, v5
	v_mov_b32_e32 v9, 2
	v_mad_u32_u24 v5, v29, 60, 0
	v_lshlrev_b32_sdwa v6, v9, v30 dst_sel:DWORD dst_unused:UNUSED_PAD src0_sel:DWORD src1_sel:BYTE_0
	v_sub_f32_e32 v18, v36, v39
	v_mov_b32_e32 v19, v32
	v_add3_u32 v12, v5, v6, v35
	v_add_f32_e32 v14, v4, v53
	v_fmac_f32_e32 v19, 0xbf5db3d7, v18
	ds_read_b32 v49, v1
	ds_read2_b32 v[4:5], v22 offset0:27 offset1:54
	ds_read2_b32 v[6:7], v22 offset0:81 offset1:108
	s_waitcnt lgkmcnt(0)
	s_barrier
	ds_write2_b32 v12, v14, v19 offset1:5
	v_add_f32_e32 v19, v54, v56
	v_fmac_f32_e32 v32, 0x3f5db3d7, v18
	v_mad_u32_u24 v14, v31, 60, 0
	v_lshlrev_b32_sdwa v18, v9, v33 dst_sel:DWORD dst_unused:UNUSED_PAD src0_sel:DWORD src1_sel:BYTE_0
	v_fma_f32 v19, -0.5, v19, v40
	v_add3_u32 v14, v14, v18, v35
	v_add_f32_e32 v18, v40, v54
	v_sub_f32_e32 v29, v55, v42
	v_mov_b32_e32 v30, v19
	v_add_f32_e32 v18, v18, v56
	v_fmac_f32_e32 v30, 0xbf5db3d7, v29
	v_fmac_f32_e32 v19, 0x3f5db3d7, v29
	v_add_f32_e32 v29, v16, v57
	ds_write_b32 v12, v32 offset:40
	ds_write2_b32 v14, v18, v30 offset1:5
	v_add_f32_e32 v18, v41, v16
	v_fmac_f32_e32 v41, -0.5, v29
	ds_write_b32 v14, v19 offset:40
	v_mad_u32_u24 v19, v50, 60, 0
	v_lshlrev_b32_sdwa v29, v9, v51 dst_sel:DWORD dst_unused:UNUSED_PAD src0_sel:DWORD src1_sel:BYTE_0
	v_add3_u32 v33, v19, v29, v35
	v_sub_f32_e32 v19, v17, v15
	v_mov_b32_e32 v29, v41
	v_add_f32_e32 v18, v18, v57
	v_fmac_f32_e32 v29, 0xbf5db3d7, v19
	ds_write2_b32 v33, v18, v29 offset1:5
	v_fmac_f32_e32 v41, 0x3f5db3d7, v19
	v_mad_u32_u24 v18, v20, 60, 0
	v_lshlrev_b32_sdwa v19, v9, v37 dst_sel:DWORD dst_unused:UNUSED_PAD src0_sel:DWORD src1_sel:BYTE_0
	v_add3_u32 v50, v18, v19, v35
	v_add_f32_e32 v19, v44, v58
	v_fma_f32 v19, -0.5, v19, v46
	v_add_f32_e32 v18, v46, v44
	v_sub_f32_e32 v20, v45, v13
	v_mov_b32_e32 v29, v19
	v_add_f32_e32 v18, v18, v58
	v_fmac_f32_e32 v29, 0xbf5db3d7, v20
	v_fmac_f32_e32 v19, 0x3f5db3d7, v20
	v_add_f32_e32 v20, v48, v59
	ds_write_b32 v33, v41 offset:40
	ds_write2_b32 v50, v18, v29 offset1:5
	v_add_f32_e32 v18, v47, v48
	v_fmac_f32_e32 v47, -0.5, v20
	ds_write_b32 v50, v19 offset:40
	v_mad_u32_u24 v19, v21, 60, 0
	v_lshlrev_b32_sdwa v20, v9, v43 dst_sel:DWORD dst_unused:UNUSED_PAD src0_sel:DWORD src1_sel:BYTE_0
	v_add3_u32 v43, v19, v20, v35
	v_sub_f32_e32 v19, v10, v11
	v_mov_b32_e32 v20, v47
	v_add_f32_e32 v18, v18, v59
	v_fmac_f32_e32 v20, 0xbf5db3d7, v19
	ds_write2_b32 v43, v18, v20 offset1:5
	v_add_f32_e32 v18, v49, v36
	v_add_f32_e32 v46, v18, v39
	;; [unrolled: 1-line block ×3, first 2 shown]
	v_fmac_f32_e32 v47, 0x3f5db3d7, v19
	v_fmac_f32_e32 v49, -0.5, v18
	ds_write_b32 v43, v47 offset:40
	v_sub_f32_e32 v47, v52, v53
	v_mov_b32_e32 v51, v49
	v_fmac_f32_e32 v51, 0x3f5db3d7, v47
	v_fmac_f32_e32 v49, 0xbf5db3d7, v47
	s_waitcnt lgkmcnt(0)
	s_barrier
	ds_read_b32 v52, v1
	ds_read2_b32 v[18:19], v22 offset0:135 offset1:162
	ds_read2_b32 v[20:21], v28 offset0:115 offset1:142
	;; [unrolled: 1-line block ×7, first 2 shown]
	s_waitcnt lgkmcnt(0)
	s_barrier
	ds_write2_b32 v12, v46, v51 offset1:5
	ds_write_b32 v12, v49 offset:40
	v_add_f32_e32 v12, v4, v55
	v_add_f32_e32 v12, v12, v42
	;; [unrolled: 1-line block ×3, first 2 shown]
	v_fma_f32 v4, -0.5, v42, v4
	v_sub_f32_e32 v46, v54, v56
	v_mov_b32_e32 v42, v4
	v_fmac_f32_e32 v42, 0x3f5db3d7, v46
	ds_write2_b32 v14, v12, v42 offset1:5
	v_fmac_f32_e32 v4, 0xbf5db3d7, v46
	v_add_f32_e32 v12, v17, v15
	ds_write_b32 v14, v4 offset:40
	v_add_f32_e32 v4, v5, v17
	v_fmac_f32_e32 v5, -0.5, v12
	v_sub_f32_e32 v12, v16, v57
	v_mov_b32_e32 v14, v5
	v_fmac_f32_e32 v5, 0xbf5db3d7, v12
	ds_write_b32 v33, v5 offset:40
	v_add_f32_e32 v5, v45, v13
	v_add_f32_e32 v4, v4, v15
	v_fmac_f32_e32 v14, 0x3f5db3d7, v12
	v_sub_f32_e32 v12, v44, v58
	v_fma_f32 v5, -0.5, v5, v6
	ds_write2_b32 v33, v4, v14 offset1:5
	v_add_f32_e32 v4, v6, v45
	v_mov_b32_e32 v6, v5
	v_fmac_f32_e32 v5, 0xbf5db3d7, v12
	v_add_f32_e32 v4, v4, v13
	v_fmac_f32_e32 v6, 0x3f5db3d7, v12
	ds_write_b32 v50, v5 offset:40
	v_add_f32_e32 v5, v10, v11
	ds_write2_b32 v50, v4, v6 offset1:5
	v_add_f32_e32 v4, v7, v10
	v_fmac_f32_e32 v7, -0.5, v5
	v_sub_f32_e32 v5, v48, v59
	v_mov_b32_e32 v6, v7
	v_add_f32_e32 v4, v4, v11
	v_fmac_f32_e32 v6, 0x3f5db3d7, v5
	ds_write2_b32 v43, v4, v6 offset1:5
	v_add_u32_e32 v4, -15, v0
	v_cndmask_b32_e64 v33, v4, v0, s[0:1]
	v_fmac_f32_e32 v7, 0xbf5db3d7, v5
	v_lshlrev_b32_e32 v4, 1, v33
	v_mov_b32_e32 v5, 0
	ds_write_b32 v43, v7 offset:40
	v_lshlrev_b64 v[6:7], 3, v[4:5]
	v_mov_b32_e32 v47, s9
	v_add_co_u32_e64 v6, s[0:1], s8, v6
	v_addc_co_u32_e64 v7, s[0:1], v47, v7, s[0:1]
	s_movk_i32 s0, 0x89
	v_mul_lo_u16_sdwa v4, v24, s0 dst_sel:DWORD dst_unused:UNUSED_PAD src0_sel:BYTE_0 src1_sel:DWORD
	v_lshrrev_b16_e32 v4, 11, v4
	s_waitcnt lgkmcnt(0)
	s_barrier
	global_load_dwordx4 v[10:13], v[6:7], off offset:80
	v_mul_lo_u16_e32 v6, 15, v4
	v_sub_u16_e32 v45, v24, v6
	v_lshlrev_b32_sdwa v6, v8, v45 dst_sel:DWORD dst_unused:UNUSED_PAD src0_sel:DWORD src1_sel:BYTE_0
	global_load_dwordx4 v[14:17], v6, s[8:9] offset:80
	ds_read2_b32 v[6:7], v22 offset0:135 offset1:162
	ds_read2_b32 v[42:43], v28 offset0:115 offset1:142
	s_waitcnt vmcnt(1) lgkmcnt(1)
	v_mul_f32_e32 v46, v6, v11
	v_mul_f32_e32 v11, v18, v11
	v_fma_f32 v48, v6, v10, -v11
	s_waitcnt lgkmcnt(0)
	v_mul_f32_e32 v49, v43, v13
	v_mul_f32_e32 v6, v21, v13
	v_fmac_f32_e32 v49, v21, v12
	v_fma_f32 v21, v43, v12, -v6
	s_waitcnt vmcnt(0)
	v_mul_f32_e32 v6, v19, v15
	v_fma_f32 v51, v7, v14, -v6
	v_mul_lo_u16_sdwa v6, v25, s0 dst_sel:DWORD dst_unused:UNUSED_PAD src0_sel:BYTE_0 src1_sel:DWORD
	ds_read2_b32 v[43:44], v26 offset0:41 offset1:68
	v_lshrrev_b16_e32 v54, 11, v6
	v_mul_lo_u16_e32 v6, 15, v54
	v_sub_u16_e32 v55, v25, v6
	v_lshlrev_b32_sdwa v6, v8, v55 dst_sel:DWORD dst_unused:UNUSED_PAD src0_sel:DWORD src1_sel:BYTE_0
	v_fmac_f32_e32 v46, v18, v10
	global_load_dwordx4 v[10:13], v6, s[8:9] offset:80
	v_mul_f32_e32 v6, v31, v17
	s_waitcnt lgkmcnt(0)
	v_mul_f32_e32 v53, v43, v17
	v_fma_f32 v56, v43, v16, -v6
	v_mul_lo_u16_sdwa v6, v27, s0 dst_sel:DWORD dst_unused:UNUSED_PAD src0_sel:BYTE_0 src1_sel:DWORD
	v_fmac_f32_e32 v53, v31, v16
	v_lshrrev_b16_e32 v31, 11, v6
	v_mul_lo_u16_e32 v6, 15, v31
	v_sub_u16_e32 v43, v27, v6
	v_mul_f32_e32 v50, v7, v15
	v_lshlrev_b32_sdwa v6, v8, v43 dst_sel:DWORD dst_unused:UNUSED_PAD src0_sel:DWORD src1_sel:BYTE_0
	v_fmac_f32_e32 v50, v19, v14
	global_load_dwordx4 v[14:17], v6, s[8:9] offset:80
	ds_read2_b32 v[6:7], v22 offset0:189 offset1:216
	ds_read2_b32 v[18:19], v26 offset0:95 offset1:122
	s_waitcnt vmcnt(1) lgkmcnt(1)
	v_mul_f32_e32 v58, v6, v11
	v_mul_f32_e32 v11, v36, v11
	v_fma_f32 v59, v6, v10, -v11
	v_mul_f32_e32 v57, v44, v13
	v_mul_f32_e32 v13, v32, v13
	v_fmac_f32_e32 v57, v32, v12
	v_fma_f32 v44, v44, v12, -v13
	v_fmac_f32_e32 v58, v36, v10
	v_sub_f32_e32 v32, v48, v21
	s_waitcnt vmcnt(0)
	v_mul_f32_e32 v60, v7, v15
	v_mul_f32_e32 v6, v37, v15
	v_fmac_f32_e32 v60, v37, v14
	v_fma_f32 v14, v7, v14, -v6
	s_waitcnt lgkmcnt(0)
	v_mul_f32_e32 v15, v18, v17
	v_mul_f32_e32 v6, v40, v17
	v_fmac_f32_e32 v15, v40, v16
	v_fma_f32 v16, v18, v16, -v6
	v_mul_lo_u16_sdwa v6, v23, s0 dst_sel:DWORD dst_unused:UNUSED_PAD src0_sel:BYTE_0 src1_sel:DWORD
	v_lshrrev_b16_e32 v17, 11, v6
	v_mul_lo_u16_e32 v6, 15, v17
	v_sub_u16_e32 v18, v23, v6
	v_lshlrev_b32_sdwa v6, v8, v18 dst_sel:DWORD dst_unused:UNUSED_PAD src0_sel:DWORD src1_sel:BYTE_0
	global_load_dwordx4 v[10:13], v6, s[8:9] offset:80
	v_add_f32_e32 v7, v46, v49
	v_cmp_lt_u32_e64 s[0:1], 14, v0
	v_lshlrev_b32_sdwa v18, v9, v18 dst_sel:DWORD dst_unused:UNUSED_PAD src0_sel:DWORD src1_sel:BYTE_0
	s_waitcnt vmcnt(0)
	v_mul_f32_e32 v61, v42, v11
	v_mul_f32_e32 v6, v20, v11
	v_fmac_f32_e32 v61, v20, v10
	v_fma_f32 v20, v42, v10, -v6
	v_mul_f32_e32 v62, v19, v13
	v_mul_f32_e32 v6, v41, v13
	v_fmac_f32_e32 v62, v41, v12
	v_fma_f32 v12, v19, v12, -v6
	v_add_f32_e32 v6, v52, v46
	v_fmac_f32_e32 v52, -0.5, v7
	v_mov_b32_e32 v7, 0xb4
	v_cndmask_b32_e64 v7, 0, v7, s[0:1]
	v_add_u32_e32 v7, 0, v7
	v_lshlrev_b32_e32 v10, 2, v33
	v_mov_b32_e32 v33, v52
	v_add3_u32 v13, v7, v10, v35
	v_add_f32_e32 v19, v6, v49
	v_fmac_f32_e32 v33, 0xbf5db3d7, v32
	s_movk_i32 s0, 0xb4
	ds_read_b32 v63, v1
	ds_read2_b32 v[6:7], v22 offset0:27 offset1:54
	ds_read2_b32 v[10:11], v22 offset0:81 offset1:108
	s_waitcnt lgkmcnt(0)
	s_barrier
	ds_write2_b32 v13, v19, v33 offset1:15
	v_fmac_f32_e32 v52, 0x3f5db3d7, v32
	v_mad_u32_u24 v4, v4, s0, 0
	v_lshlrev_b32_sdwa v19, v9, v45 dst_sel:DWORD dst_unused:UNUSED_PAD src0_sel:DWORD src1_sel:BYTE_0
	v_add_f32_e32 v32, v50, v53
	v_add3_u32 v4, v4, v19, v35
	v_add_f32_e32 v19, v29, v50
	v_fma_f32 v29, -0.5, v32, v29
	v_sub_f32_e32 v32, v51, v56
	v_mov_b32_e32 v33, v29
	v_add_f32_e32 v19, v19, v53
	v_fmac_f32_e32 v33, 0xbf5db3d7, v32
	v_fmac_f32_e32 v29, 0x3f5db3d7, v32
	v_add_f32_e32 v32, v58, v57
	ds_write_b32 v13, v52 offset:120
	ds_write2_b32 v4, v19, v33 offset1:15
	v_add_f32_e32 v19, v30, v58
	v_fmac_f32_e32 v30, -0.5, v32
	ds_write_b32 v4, v29 offset:120
	v_mad_u32_u24 v29, v54, s0, 0
	v_lshlrev_b32_sdwa v32, v9, v55 dst_sel:DWORD dst_unused:UNUSED_PAD src0_sel:DWORD src1_sel:BYTE_0
	v_add3_u32 v33, v29, v32, v35
	v_sub_f32_e32 v29, v59, v44
	v_mov_b32_e32 v32, v30
	v_add_f32_e32 v19, v19, v57
	v_fmac_f32_e32 v32, 0xbf5db3d7, v29
	ds_write2_b32 v33, v19, v32 offset1:15
	v_fmac_f32_e32 v30, 0x3f5db3d7, v29
	v_mad_u32_u24 v19, v31, s0, 0
	v_lshlrev_b32_sdwa v29, v9, v43 dst_sel:DWORD dst_unused:UNUSED_PAD src0_sel:DWORD src1_sel:BYTE_0
	v_add3_u32 v45, v19, v29, v35
	v_add_f32_e32 v29, v60, v15
	v_fma_f32 v29, -0.5, v29, v38
	ds_write_b32 v33, v30 offset:120
	v_add_f32_e32 v19, v38, v60
	v_sub_f32_e32 v30, v14, v16
	v_mov_b32_e32 v31, v29
	v_add_f32_e32 v19, v19, v15
	v_fmac_f32_e32 v31, 0xbf5db3d7, v30
	v_fmac_f32_e32 v29, 0x3f5db3d7, v30
	v_add_f32_e32 v30, v61, v62
	ds_write2_b32 v45, v19, v31 offset1:15
	v_add_f32_e32 v19, v39, v61
	v_fmac_f32_e32 v39, -0.5, v30
	v_mad_u32_u24 v17, v17, s0, 0
	ds_write_b32 v45, v29 offset:120
	v_add3_u32 v17, v17, v18, v35
	v_add_f32_e32 v18, v19, v62
	v_sub_f32_e32 v19, v20, v12
	v_mov_b32_e32 v29, v39
	v_fmac_f32_e32 v29, 0xbf5db3d7, v19
	ds_write2_b32 v17, v18, v29 offset1:15
	v_add_f32_e32 v18, v63, v48
	v_add_f32_e32 v52, v18, v21
	;; [unrolled: 1-line block ×3, first 2 shown]
	v_fmac_f32_e32 v63, -0.5, v18
	v_sub_f32_e32 v21, v46, v49
	v_mov_b32_e32 v46, v63
	v_fmac_f32_e32 v39, 0x3f5db3d7, v19
	v_fmac_f32_e32 v46, 0x3f5db3d7, v21
	;; [unrolled: 1-line block ×3, first 2 shown]
	v_add_f32_e32 v21, v51, v56
	ds_write_b32 v17, v39 offset:120
	s_waitcnt lgkmcnt(0)
	s_barrier
	ds_read_b32 v48, v1
	ds_read2_b32 v[18:19], v22 offset0:135 offset1:162
	ds_read2_b32 v[29:30], v28 offset0:115 offset1:142
	;; [unrolled: 1-line block ×7, first 2 shown]
	s_waitcnt lgkmcnt(0)
	s_barrier
	ds_write2_b32 v13, v52, v46 offset1:15
	ds_write_b32 v13, v63 offset:120
	v_add_f32_e32 v13, v6, v51
	v_sub_f32_e32 v46, v50, v53
	v_fma_f32 v6, -0.5, v21, v6
	v_mov_b32_e32 v21, v6
	v_fmac_f32_e32 v6, 0xbf5db3d7, v46
	v_add_f32_e32 v13, v13, v56
	v_fmac_f32_e32 v21, 0x3f5db3d7, v46
	ds_write_b32 v4, v6 offset:120
	v_add_f32_e32 v6, v59, v44
	ds_write2_b32 v4, v13, v21 offset1:15
	v_add_f32_e32 v4, v7, v59
	v_fmac_f32_e32 v7, -0.5, v6
	v_sub_f32_e32 v6, v58, v57
	v_mov_b32_e32 v13, v7
	v_fmac_f32_e32 v13, 0x3f5db3d7, v6
	v_fmac_f32_e32 v7, 0xbf5db3d7, v6
	v_add_f32_e32 v6, v14, v16
	v_add_f32_e32 v4, v4, v44
	ds_write_b32 v33, v7 offset:120
	v_sub_f32_e32 v7, v60, v15
	v_fma_f32 v6, -0.5, v6, v10
	ds_write2_b32 v33, v4, v13 offset1:15
	v_add_f32_e32 v4, v10, v14
	v_mov_b32_e32 v10, v6
	v_fmac_f32_e32 v6, 0xbf5db3d7, v7
	v_add_f32_e32 v4, v4, v16
	v_fmac_f32_e32 v10, 0x3f5db3d7, v7
	ds_write_b32 v45, v6 offset:120
	v_add_f32_e32 v6, v20, v12
	ds_write2_b32 v45, v4, v10 offset1:15
	v_add_f32_e32 v4, v11, v20
	v_fmac_f32_e32 v11, -0.5, v6
	v_sub_f32_e32 v6, v61, v62
	v_mov_b32_e32 v7, v11
	v_add_f32_e32 v4, v4, v12
	v_fmac_f32_e32 v7, 0x3f5db3d7, v6
	ds_write2_b32 v17, v4, v7 offset1:15
	v_lshlrev_b32_e32 v4, 1, v0
	v_fmac_f32_e32 v11, 0xbf5db3d7, v6
	v_lshlrev_b64 v[6:7], 3, v[4:5]
	v_subrev_u32_e32 v14, 18, v0
	v_add_co_u32_e64 v6, s[0:1], s8, v6
	v_addc_co_u32_e64 v7, s[0:1], v47, v7, s[0:1]
	v_cmp_gt_u32_e64 s[0:1], 18, v0
	v_cndmask_b32_e64 v33, v14, v24, s[0:1]
	ds_write_b32 v17, v11 offset:120
	s_waitcnt lgkmcnt(0)
	s_barrier
	global_load_dwordx4 v[10:13], v[6:7], off offset:320
	v_lshlrev_b32_e32 v14, 1, v33
	v_mov_b32_e32 v15, v5
	v_lshlrev_b64 v[14:15], 3, v[14:15]
	v_add_u32_e32 v4, 18, v4
	v_add_co_u32_e64 v14, s[0:1], s8, v14
	v_addc_co_u32_e64 v15, s[0:1], v47, v15, s[0:1]
	global_load_dwordx4 v[14:17], v[14:15], off offset:320
	ds_read2_b32 v[20:21], v22 offset0:135 offset1:162
	ds_read2_b32 v[44:45], v28 offset0:115 offset1:142
	s_waitcnt vmcnt(1) lgkmcnt(1)
	v_mul_f32_e32 v49, v20, v11
	v_mul_f32_e32 v11, v18, v11
	v_fmac_f32_e32 v49, v18, v10
	v_fma_f32 v50, v20, v10, -v11
	s_waitcnt lgkmcnt(0)
	v_mul_f32_e32 v51, v45, v13
	v_mul_f32_e32 v10, v30, v13
	v_fmac_f32_e32 v51, v30, v12
	v_fma_f32 v30, v45, v12, -v10
	ds_read2_b32 v[45:46], v26 offset0:41 offset1:68
	s_waitcnt vmcnt(0)
	v_mul_f32_e32 v10, v19, v15
	v_fma_f32 v53, v21, v14, -v10
	v_mul_f32_e32 v10, v36, v17
	v_mul_f32_e32 v52, v21, v15
	s_waitcnt lgkmcnt(0)
	v_mul_f32_e32 v54, v45, v17
	v_fma_f32 v45, v45, v16, -v10
	v_lshlrev_b64 v[10:11], 3, v[4:5]
	v_fmac_f32_e32 v52, v19, v14
	v_add_co_u32_e64 v10, s[0:1], s8, v10
	v_addc_co_u32_e64 v11, s[0:1], v47, v11, s[0:1]
	s_movk_i32 s0, 0x6d
	v_mul_lo_u16_sdwa v4, v27, s0 dst_sel:DWORD dst_unused:UNUSED_PAD src0_sel:BYTE_0 src1_sel:DWORD
	v_sub_u16_sdwa v14, v27, v4 dst_sel:DWORD dst_unused:UNUSED_PAD src0_sel:DWORD src1_sel:BYTE_1
	v_lshrrev_b16_e32 v14, 1, v14
	v_and_b32_e32 v14, 0x7f, v14
	v_add_u16_sdwa v4, v14, v4 dst_sel:DWORD dst_unused:UNUSED_PAD src0_sel:DWORD src1_sel:BYTE_1
	v_lshrrev_b16_e32 v4, 5, v4
	global_load_dwordx4 v[10:13], v[10:11], off offset:320
	v_mul_lo_u16_e32 v14, 45, v4
	v_sub_u16_e32 v47, v27, v14
	v_lshlrev_b32_sdwa v8, v8, v47 dst_sel:DWORD dst_unused:UNUSED_PAD src0_sel:DWORD src1_sel:BYTE_0
	v_fmac_f32_e32 v54, v36, v16
	global_load_dwordx4 v[14:17], v8, s[8:9] offset:320
	v_mul_lo_u16_sdwa v8, v23, s0 dst_sel:DWORD dst_unused:UNUSED_PAD src0_sel:BYTE_0 src1_sel:DWORD
	v_sub_u16_sdwa v18, v23, v8 dst_sel:DWORD dst_unused:UNUSED_PAD src0_sel:DWORD src1_sel:BYTE_1
	v_lshrrev_b16_e32 v18, 1, v18
	v_and_b32_e32 v18, 0x7f, v18
	v_add_u16_sdwa v8, v18, v8 dst_sel:DWORD dst_unused:UNUSED_PAD src0_sel:DWORD src1_sel:BYTE_1
	v_lshrrev_b16_e32 v8, 5, v8
	v_mul_lo_u16_e32 v8, 45, v8
	v_sub_u16_e32 v8, v23, v8
	v_and_b32_e32 v8, 0xff, v8
	v_lshlrev_b32_e32 v18, 4, v8
	global_load_dwordx4 v[18:21], v18, s[8:9] offset:320
	v_cmp_lt_u32_e64 s[0:1], 17, v0
	v_lshlrev_b32_sdwa v9, v9, v47 dst_sel:DWORD dst_unused:UNUSED_PAD src0_sel:DWORD src1_sel:BYTE_0
	s_waitcnt vmcnt(2)
	v_mul_f32_e32 v55, v46, v13
	v_fmac_f32_e32 v55, v37, v12
	v_mul_f32_e32 v13, v37, v13
	ds_read2_b32 v[36:37], v22 offset0:189 offset1:216
	v_fma_f32 v46, v46, v12, -v13
	s_waitcnt vmcnt(1)
	v_mul_f32_e32 v12, v39, v15
	s_waitcnt lgkmcnt(0)
	v_mul_f32_e32 v56, v36, v11
	v_mul_f32_e32 v11, v38, v11
	v_fmac_f32_e32 v56, v38, v10
	v_fma_f32 v57, v36, v10, -v11
	ds_read2_b32 v[10:11], v26 offset0:95 offset1:122
	v_fma_f32 v59, v37, v14, -v12
	v_mul_f32_e32 v12, v42, v17
	v_mul_f32_e32 v58, v37, v15
	s_waitcnt vmcnt(0)
	v_mul_f32_e32 v61, v44, v19
	s_waitcnt lgkmcnt(0)
	v_mul_f32_e32 v60, v10, v17
	v_fmac_f32_e32 v60, v42, v16
	v_fma_f32 v42, v10, v16, -v12
	v_mul_f32_e32 v10, v29, v19
	v_fma_f32 v44, v44, v18, -v10
	v_mul_f32_e32 v62, v11, v21
	v_mul_f32_e32 v10, v43, v21
	v_fmac_f32_e32 v62, v43, v20
	v_fma_f32 v43, v11, v20, -v10
	v_add_f32_e32 v11, v49, v51
	v_add_f32_e32 v10, v48, v49
	v_fmac_f32_e32 v48, -0.5, v11
	v_sub_f32_e32 v11, v50, v30
	v_mov_b32_e32 v12, v48
	v_add_f32_e32 v10, v10, v51
	v_fmac_f32_e32 v12, 0xbf5db3d7, v11
	v_fmac_f32_e32 v58, v39, v14
	ds_read_b32 v63, v1
	ds_read2_b32 v[36:37], v22 offset0:27 offset1:54
	ds_read2_b32 v[38:39], v22 offset0:81 offset1:108
	s_waitcnt lgkmcnt(0)
	s_barrier
	ds_write2_b32 v22, v10, v12 offset1:45
	v_mov_b32_e32 v10, 0x21c
	v_cndmask_b32_e64 v10, 0, v10, s[0:1]
	v_fmac_f32_e32 v48, 0x3f5db3d7, v11
	v_add_u32_e32 v10, 0, v10
	v_lshlrev_b32_e32 v11, 2, v33
	v_add3_u32 v33, v10, v11, v35
	v_add_f32_e32 v11, v52, v54
	v_fma_f32 v11, -0.5, v11, v31
	v_add_f32_e32 v10, v31, v52
	v_sub_f32_e32 v12, v53, v45
	v_mov_b32_e32 v13, v11
	v_add_f32_e32 v10, v10, v54
	v_fmac_f32_e32 v13, 0xbf5db3d7, v12
	v_fmac_f32_e32 v11, 0x3f5db3d7, v12
	v_add_f32_e32 v12, v56, v55
	ds_write_b32 v22, v48 offset:360
	ds_write2_b32 v33, v10, v13 offset1:45
	v_add_f32_e32 v10, v32, v56
	v_fmac_f32_e32 v32, -0.5, v12
	ds_write_b32 v33, v11 offset:360
	v_sub_f32_e32 v11, v57, v46
	v_mov_b32_e32 v12, v32
	v_add_f32_e32 v10, v10, v55
	v_fmac_f32_e32 v12, 0xbf5db3d7, v11
	ds_write2_b32 v22, v10, v12 offset0:144 offset1:189
	s_movk_i32 s0, 0x21c
	v_add_f32_e32 v10, v58, v60
	v_mad_u32_u24 v4, v4, s0, 0
	v_fma_f32 v10, -0.5, v10, v40
	v_fmac_f32_e32 v61, v29, v18
	v_fmac_f32_e32 v32, 0x3f5db3d7, v11
	v_add3_u32 v4, v4, v9, v35
	v_add_f32_e32 v9, v40, v58
	v_sub_f32_e32 v11, v59, v42
	v_mov_b32_e32 v12, v10
	v_add_f32_e32 v9, v9, v60
	v_fmac_f32_e32 v12, 0xbf5db3d7, v11
	v_fmac_f32_e32 v10, 0x3f5db3d7, v11
	v_add_f32_e32 v11, v61, v62
	ds_write_b32 v22, v32 offset:936
	ds_write2_b32 v4, v9, v12 offset1:45
	v_add_f32_e32 v9, v41, v61
	v_fmac_f32_e32 v41, -0.5, v11
	ds_write_b32 v4, v10 offset:360
	v_lshl_add_u32 v31, v8, 2, v34
	v_add_f32_e32 v8, v9, v62
	v_sub_f32_e32 v9, v44, v43
	v_mov_b32_e32 v10, v41
	v_fmac_f32_e32 v10, 0xbf5db3d7, v9
	v_add_u32_e32 v32, 0x400, v31
	ds_write2_b32 v32, v8, v10 offset0:14 offset1:59
	v_add_f32_e32 v8, v63, v50
	v_add_f32_e32 v34, v8, v30
	;; [unrolled: 1-line block ×3, first 2 shown]
	v_fmac_f32_e32 v63, -0.5, v8
	v_sub_f32_e32 v30, v49, v51
	v_mov_b32_e32 v35, v63
	v_fmac_f32_e32 v41, 0x3f5db3d7, v9
	v_fmac_f32_e32 v35, 0x3f5db3d7, v30
	ds_write_b32 v31, v41 offset:1440
	s_waitcnt lgkmcnt(0)
	s_barrier
	ds_read_b32 v29, v1
	ds_read2_b32 v[10:11], v22 offset0:135 offset1:162
	ds_read2_b32 v[8:9], v28 offset0:115 offset1:142
	;; [unrolled: 1-line block ×7, first 2 shown]
	s_waitcnt lgkmcnt(0)
	s_barrier
	ds_write2_b32 v22, v34, v35 offset1:45
	v_add_f32_e32 v34, v53, v45
	v_fma_f32 v34, -0.5, v34, v36
	v_fmac_f32_e32 v63, 0xbf5db3d7, v30
	v_add_f32_e32 v30, v36, v53
	v_sub_f32_e32 v35, v52, v54
	v_mov_b32_e32 v36, v34
	v_add_f32_e32 v30, v30, v45
	v_fmac_f32_e32 v36, 0x3f5db3d7, v35
	v_fmac_f32_e32 v34, 0xbf5db3d7, v35
	ds_write_b32 v22, v63 offset:360
	ds_write2_b32 v33, v30, v36 offset1:45
	ds_write_b32 v33, v34 offset:360
	v_add_f32_e32 v33, v57, v46
	v_add_f32_e32 v30, v37, v57
	v_fmac_f32_e32 v37, -0.5, v33
	v_sub_f32_e32 v33, v56, v55
	v_mov_b32_e32 v34, v37
	v_fmac_f32_e32 v34, 0x3f5db3d7, v33
	v_fmac_f32_e32 v37, 0xbf5db3d7, v33
	v_add_f32_e32 v33, v59, v42
	v_add_f32_e32 v30, v30, v46
	v_fma_f32 v33, -0.5, v33, v38
	ds_write2_b32 v22, v30, v34 offset0:144 offset1:189
	v_add_f32_e32 v30, v38, v59
	v_sub_f32_e32 v34, v58, v60
	v_mov_b32_e32 v35, v33
	v_add_f32_e32 v30, v30, v42
	v_fmac_f32_e32 v35, 0x3f5db3d7, v34
	ds_write_b32 v22, v37 offset:936
	ds_write2_b32 v4, v30, v35 offset1:45
	v_fmac_f32_e32 v33, 0xbf5db3d7, v34
	v_add_f32_e32 v30, v44, v43
	ds_write_b32 v4, v33 offset:360
	v_add_f32_e32 v4, v39, v44
	v_fmac_f32_e32 v39, -0.5, v30
	v_sub_f32_e32 v30, v61, v62
	v_mov_b32_e32 v33, v39
	v_add_f32_e32 v4, v4, v43
	v_fmac_f32_e32 v33, 0x3f5db3d7, v30
	v_fmac_f32_e32 v39, 0xbf5db3d7, v30
	ds_write2_b32 v32, v4, v33 offset0:14 offset1:59
	ds_write_b32 v31, v39 offset:1440
	s_waitcnt lgkmcnt(0)
	s_barrier
	s_and_saveexec_b64 s[0:1], vcc
	s_cbranch_execz .LBB0_13
; %bb.12:
	v_lshlrev_b32_e32 v4, 1, v23
	v_lshlrev_b64 v[30:31], 3, v[4:5]
	v_lshlrev_b32_e32 v4, 1, v27
	v_mov_b32_e32 v42, s9
	v_add_co_u32_e32 v30, vcc, s8, v30
	v_lshlrev_b64 v[34:35], 3, v[4:5]
	v_addc_co_u32_e32 v31, vcc, v42, v31, vcc
	v_lshlrev_b32_e32 v4, 1, v25
	v_add_co_u32_e32 v34, vcc, s8, v34
	v_lshlrev_b64 v[38:39], 3, v[4:5]
	global_load_dwordx4 v[30:33], v[30:31], off offset:1040
	v_addc_co_u32_e32 v35, vcc, v42, v35, vcc
	global_load_dwordx4 v[34:37], v[34:35], off offset:1040
	v_add_co_u32_e32 v38, vcc, s8, v38
	v_addc_co_u32_e32 v39, vcc, v42, v39, vcc
	global_load_dwordx4 v[38:41], v[38:39], off offset:1040
	v_lshlrev_b32_e32 v4, 1, v24
	v_lshlrev_b64 v[24:25], 3, v[4:5]
	ds_read2_b32 v[46:47], v22 offset0:81 offset1:108
	v_add_co_u32_e32 v24, vcc, s8, v24
	v_addc_co_u32_e32 v25, vcc, v42, v25, vcc
	global_load_dwordx4 v[42:45], v[24:25], off offset:1040
	ds_read2_b32 v[48:49], v28 offset0:115 offset1:142
	ds_read2_b32 v[50:51], v26 offset0:95 offset1:122
	;; [unrolled: 1-line block ×5, first 2 shown]
	global_load_dwordx4 v[24:27], v[6:7], off offset:1040
	ds_read_b32 v1, v1
	v_add_co_u32_e32 v2, vcc, s2, v2
	s_mov_b32 s0, 0xf2b9d649
	s_waitcnt vmcnt(4)
	v_mul_f32_e32 v4, v8, v31
	s_waitcnt lgkmcnt(5)
	v_mul_f32_e32 v7, v48, v31
	s_waitcnt lgkmcnt(4)
	v_mul_f32_e32 v28, v51, v33
	v_mul_f32_e32 v6, v21, v33
	v_fma_f32 v4, v48, v30, -v4
	v_fmac_f32_e32 v7, v8, v30
	v_fmac_f32_e32 v28, v21, v32
	s_waitcnt vmcnt(3)
	v_mul_f32_e32 v21, v20, v37
	v_mul_f32_e32 v37, v50, v37
	v_fma_f32 v6, v51, v32, -v6
	v_mul_f32_e32 v8, v17, v35
	s_waitcnt lgkmcnt(3)
	v_mul_f32_e32 v30, v53, v35
	v_fmac_f32_e32 v37, v20, v36
	v_add_f32_e32 v20, v47, v4
	v_add_f32_e32 v32, v7, v28
	;; [unrolled: 1-line block ×3, first 2 shown]
	v_sub_f32_e32 v4, v4, v6
	v_fma_f32 v8, v53, v34, -v8
	v_fmac_f32_e32 v30, v17, v34
	s_waitcnt vmcnt(2)
	v_mul_f32_e32 v17, v16, v39
	v_mul_f32_e32 v34, v15, v41
	v_add_f32_e32 v20, v20, v6
	v_fma_f32 v6, -0.5, v32, v19
	v_fma_f32 v21, v50, v36, -v21
	v_sub_f32_e32 v48, v7, v28
	v_add_f32_e32 v33, v19, v7
	v_fma_f32 v7, -0.5, v31, v47
	v_add_f32_e32 v35, v46, v8
	v_fma_f32 v47, v52, v38, -v17
	v_add_f32_e32 v17, v30, v37
	s_waitcnt lgkmcnt(1)
	v_fma_f32 v51, v57, v40, -v34
	v_mov_b32_e32 v32, v6
	v_mul_f32_e32 v50, v52, v39
	v_add_f32_e32 v19, v33, v28
	v_add_f32_e32 v28, v8, v21
	v_sub_f32_e32 v36, v30, v37
	v_sub_f32_e32 v8, v8, v21
	v_add_f32_e32 v39, v18, v30
	v_fmac_f32_e32 v6, 0xbf5db3d7, v4
	v_add_f32_e32 v35, v35, v21
	v_fma_f32 v30, -0.5, v17, v18
	v_add_f32_e32 v21, v47, v51
	v_fmac_f32_e32 v32, 0x3f5db3d7, v4
	v_mul_f32_e32 v4, v57, v41
	v_add_f32_e32 v34, v39, v37
	v_mov_b32_e32 v17, v30
	v_fma_f32 v37, -0.5, v21, v55
	v_fmac_f32_e32 v50, v16, v38
	v_fmac_f32_e32 v4, v15, v40
	;; [unrolled: 1-line block ×4, first 2 shown]
	v_sub_f32_e32 v8, v50, v4
	v_mov_b32_e32 v16, v37
	v_fma_f32 v31, -0.5, v28, v46
	v_fmac_f32_e32 v16, 0xbf5db3d7, v8
	v_fmac_f32_e32 v37, 0x3f5db3d7, v8
	v_add_f32_e32 v8, v55, v47
	v_mov_b32_e32 v18, v31
	v_add_f32_e32 v39, v8, v51
	v_add_f32_e32 v8, v50, v4
	ds_read2_b32 v[21:22], v22 offset0:135 offset1:162
	v_fmac_f32_e32 v31, 0x3f5db3d7, v36
	v_fmac_f32_e32 v18, 0xbf5db3d7, v36
	v_fma_f32 v36, -0.5, v8, v13
	v_sub_f32_e32 v8, v47, v51
	v_mov_b32_e32 v15, v36
	v_fmac_f32_e32 v15, 0x3f5db3d7, v8
	v_fmac_f32_e32 v36, 0xbf5db3d7, v8
	v_add_f32_e32 v8, v13, v50
	v_add_f32_e32 v38, v8, v4
	s_waitcnt vmcnt(1)
	v_mul_f32_e32 v4, v11, v43
	v_mul_f32_e32 v8, v14, v45
	s_waitcnt lgkmcnt(0)
	v_fma_f32 v4, v22, v42, -v4
	v_fma_f32 v8, v56, v44, -v8
	v_mul_f32_e32 v22, v22, v43
	v_add_f32_e32 v13, v4, v8
	v_fmac_f32_e32 v22, v11, v42
	v_mul_f32_e32 v11, v56, v45
	v_fma_f32 v41, -0.5, v13, v54
	v_fmac_f32_e32 v11, v14, v44
	v_sub_f32_e32 v13, v22, v11
	v_mov_b32_e32 v14, v41
	v_fmac_f32_e32 v14, 0xbf5db3d7, v13
	v_fmac_f32_e32 v41, 0x3f5db3d7, v13
	v_add_f32_e32 v13, v54, v4
	v_add_f32_e32 v43, v13, v8
	;; [unrolled: 1-line block ×3, first 2 shown]
	v_fma_f32 v40, -0.5, v13, v12
	v_sub_f32_e32 v4, v4, v8
	v_mov_b32_e32 v13, v40
	v_fmac_f32_e32 v13, 0x3f5db3d7, v4
	v_fmac_f32_e32 v40, 0xbf5db3d7, v4
	v_add_f32_e32 v4, v12, v22
	v_add_f32_e32 v42, v4, v11
	s_waitcnt vmcnt(0)
	v_mul_f32_e32 v4, v10, v25
	v_mul_f32_e32 v8, v9, v27
	v_fma_f32 v4, v21, v24, -v4
	v_fma_f32 v8, v49, v26, -v8
	v_add_f32_e32 v11, v4, v8
	v_mul_f32_e32 v12, v21, v25
	v_mul_f32_e32 v21, v49, v27
	v_fma_f32 v11, -0.5, v11, v1
	v_fmac_f32_e32 v12, v10, v24
	v_fmac_f32_e32 v21, v9, v26
	v_add_f32_e32 v1, v1, v4
	v_sub_f32_e32 v10, v12, v21
	v_mov_b32_e32 v9, v11
	v_add_f32_e32 v22, v1, v8
	v_add_f32_e32 v1, v12, v21
	v_fmac_f32_e32 v9, 0xbf5db3d7, v10
	v_fmac_f32_e32 v11, 0x3f5db3d7, v10
	v_fma_f32 v10, -0.5, v1, v29
	v_sub_f32_e32 v1, v4, v8
	v_mov_b32_e32 v8, v10
	v_fmac_f32_e32 v8, 0x3f5db3d7, v1
	v_fmac_f32_e32 v10, 0xbf5db3d7, v1
	v_add_f32_e32 v1, v29, v12
	v_add_f32_e32 v21, v1, v21
	v_mov_b32_e32 v1, v5
	v_mov_b32_e32 v4, s3
	v_lshlrev_b64 v[0:1], 3, v[0:1]
	v_addc_co_u32_e32 v3, vcc, v4, v3, vcc
	v_add_co_u32_e32 v0, vcc, v2, v0
	v_mul_hi_u32 v2, v23, s0
	v_addc_co_u32_e32 v1, vcc, v3, v1, vcc
	global_store_dwordx2 v[0:1], v[21:22], off
	global_store_dwordx2 v[0:1], v[10:11], off offset:1080
	global_store_dwordx2 v[0:1], v[8:9], off offset:2160
	;; [unrolled: 1-line block ×8, first 2 shown]
	v_lshrrev_b32_e32 v2, 7, v2
	v_mul_u32_u24_e32 v4, 0x10e, v2
	v_lshlrev_b64 v[2:3], 3, v[4:5]
	global_store_dwordx2 v[0:1], v[34:35], off offset:648
	global_store_dwordx2 v[0:1], v[30:31], off offset:1728
	;; [unrolled: 1-line block ×3, first 2 shown]
	v_add_co_u32_e32 v0, vcc, v0, v2
	v_mov_b32_e32 v33, v7
	v_addc_co_u32_e32 v1, vcc, v1, v3, vcc
	v_fmac_f32_e32 v7, 0x3f5db3d7, v48
	v_fmac_f32_e32 v33, 0xbf5db3d7, v48
	global_store_dwordx2 v[0:1], v[19:20], off offset:864
	global_store_dwordx2 v[0:1], v[6:7], off offset:1944
	;; [unrolled: 1-line block ×3, first 2 shown]
.LBB0_13:
	s_endpgm
	.section	.rodata,"a",@progbits
	.p2align	6, 0x0
	.amdhsa_kernel fft_rtc_back_len405_factors_5_3_3_3_3_wgs_108_tpt_27_halfLds_sp_ip_CI_unitstride_sbrr_dirReg
		.amdhsa_group_segment_fixed_size 0
		.amdhsa_private_segment_fixed_size 0
		.amdhsa_kernarg_size 88
		.amdhsa_user_sgpr_count 6
		.amdhsa_user_sgpr_private_segment_buffer 1
		.amdhsa_user_sgpr_dispatch_ptr 0
		.amdhsa_user_sgpr_queue_ptr 0
		.amdhsa_user_sgpr_kernarg_segment_ptr 1
		.amdhsa_user_sgpr_dispatch_id 0
		.amdhsa_user_sgpr_flat_scratch_init 0
		.amdhsa_user_sgpr_private_segment_size 0
		.amdhsa_uses_dynamic_stack 0
		.amdhsa_system_sgpr_private_segment_wavefront_offset 0
		.amdhsa_system_sgpr_workgroup_id_x 1
		.amdhsa_system_sgpr_workgroup_id_y 0
		.amdhsa_system_sgpr_workgroup_id_z 0
		.amdhsa_system_sgpr_workgroup_info 0
		.amdhsa_system_vgpr_workitem_id 0
		.amdhsa_next_free_vgpr 64
		.amdhsa_next_free_sgpr 22
		.amdhsa_reserve_vcc 1
		.amdhsa_reserve_flat_scratch 0
		.amdhsa_float_round_mode_32 0
		.amdhsa_float_round_mode_16_64 0
		.amdhsa_float_denorm_mode_32 3
		.amdhsa_float_denorm_mode_16_64 3
		.amdhsa_dx10_clamp 1
		.amdhsa_ieee_mode 1
		.amdhsa_fp16_overflow 0
		.amdhsa_exception_fp_ieee_invalid_op 0
		.amdhsa_exception_fp_denorm_src 0
		.amdhsa_exception_fp_ieee_div_zero 0
		.amdhsa_exception_fp_ieee_overflow 0
		.amdhsa_exception_fp_ieee_underflow 0
		.amdhsa_exception_fp_ieee_inexact 0
		.amdhsa_exception_int_div_zero 0
	.end_amdhsa_kernel
	.text
.Lfunc_end0:
	.size	fft_rtc_back_len405_factors_5_3_3_3_3_wgs_108_tpt_27_halfLds_sp_ip_CI_unitstride_sbrr_dirReg, .Lfunc_end0-fft_rtc_back_len405_factors_5_3_3_3_3_wgs_108_tpt_27_halfLds_sp_ip_CI_unitstride_sbrr_dirReg
                                        ; -- End function
	.section	.AMDGPU.csdata,"",@progbits
; Kernel info:
; codeLenInByte = 7664
; NumSgprs: 26
; NumVgprs: 64
; ScratchSize: 0
; MemoryBound: 0
; FloatMode: 240
; IeeeMode: 1
; LDSByteSize: 0 bytes/workgroup (compile time only)
; SGPRBlocks: 3
; VGPRBlocks: 15
; NumSGPRsForWavesPerEU: 26
; NumVGPRsForWavesPerEU: 64
; Occupancy: 4
; WaveLimiterHint : 1
; COMPUTE_PGM_RSRC2:SCRATCH_EN: 0
; COMPUTE_PGM_RSRC2:USER_SGPR: 6
; COMPUTE_PGM_RSRC2:TRAP_HANDLER: 0
; COMPUTE_PGM_RSRC2:TGID_X_EN: 1
; COMPUTE_PGM_RSRC2:TGID_Y_EN: 0
; COMPUTE_PGM_RSRC2:TGID_Z_EN: 0
; COMPUTE_PGM_RSRC2:TIDIG_COMP_CNT: 0
	.type	__hip_cuid_5f932973f02888dc,@object ; @__hip_cuid_5f932973f02888dc
	.section	.bss,"aw",@nobits
	.globl	__hip_cuid_5f932973f02888dc
__hip_cuid_5f932973f02888dc:
	.byte	0                               ; 0x0
	.size	__hip_cuid_5f932973f02888dc, 1

	.ident	"AMD clang version 19.0.0git (https://github.com/RadeonOpenCompute/llvm-project roc-6.4.0 25133 c7fe45cf4b819c5991fe208aaa96edf142730f1d)"
	.section	".note.GNU-stack","",@progbits
	.addrsig
	.addrsig_sym __hip_cuid_5f932973f02888dc
	.amdgpu_metadata
---
amdhsa.kernels:
  - .args:
      - .actual_access:  read_only
        .address_space:  global
        .offset:         0
        .size:           8
        .value_kind:     global_buffer
      - .offset:         8
        .size:           8
        .value_kind:     by_value
      - .actual_access:  read_only
        .address_space:  global
        .offset:         16
        .size:           8
        .value_kind:     global_buffer
      - .actual_access:  read_only
        .address_space:  global
        .offset:         24
        .size:           8
        .value_kind:     global_buffer
      - .offset:         32
        .size:           8
        .value_kind:     by_value
      - .actual_access:  read_only
        .address_space:  global
        .offset:         40
        .size:           8
        .value_kind:     global_buffer
      - .actual_access:  read_only
        .address_space:  global
        .offset:         48
        .size:           8
        .value_kind:     global_buffer
      - .offset:         56
        .size:           4
        .value_kind:     by_value
      - .actual_access:  read_only
        .address_space:  global
        .offset:         64
        .size:           8
        .value_kind:     global_buffer
      - .actual_access:  read_only
        .address_space:  global
        .offset:         72
        .size:           8
        .value_kind:     global_buffer
      - .address_space:  global
        .offset:         80
        .size:           8
        .value_kind:     global_buffer
    .group_segment_fixed_size: 0
    .kernarg_segment_align: 8
    .kernarg_segment_size: 88
    .language:       OpenCL C
    .language_version:
      - 2
      - 0
    .max_flat_workgroup_size: 108
    .name:           fft_rtc_back_len405_factors_5_3_3_3_3_wgs_108_tpt_27_halfLds_sp_ip_CI_unitstride_sbrr_dirReg
    .private_segment_fixed_size: 0
    .sgpr_count:     26
    .sgpr_spill_count: 0
    .symbol:         fft_rtc_back_len405_factors_5_3_3_3_3_wgs_108_tpt_27_halfLds_sp_ip_CI_unitstride_sbrr_dirReg.kd
    .uniform_work_group_size: 1
    .uses_dynamic_stack: false
    .vgpr_count:     64
    .vgpr_spill_count: 0
    .wavefront_size: 64
amdhsa.target:   amdgcn-amd-amdhsa--gfx906
amdhsa.version:
  - 1
  - 2
...

	.end_amdgpu_metadata
